;; amdgpu-corpus repo=FlagOpen/FlagGems kind=triton arch=gfx950 opt=O3 lang=triton
	.amdgcn_target "amdgcn-amd-amdhsa--gfx950"
	.amdhsa_code_object_version 5
	.text
	.globl	_euclidean_dist_kernel          ; -- Begin function _euclidean_dist_kernel
	.p2align	8
	.type	_euclidean_dist_kernel,@function
_euclidean_dist_kernel:                 ; @_euclidean_dist_kernel
.Lfunc_begin0:
	.cfi_sections .debug_frame
	.cfi_startproc
; %bb.16:
	.file	1 "/root/src/amdgpu-assembly/repos/FlagOpen__FlagGems/triton_aot_kernels" "_euclidean_dist_aot.py"
	.loc	1 8 0 prologue_end              ; _euclidean_dist_aot.py:8:0
	s_load_dwordx2 s[2:3], s[0:1], 0x0
	s_load_dwordx8 s[4:11], s[0:1], 0x8
	s_load_dwordx4 s[12:15], s[0:1], 0x28
	s_waitcnt lgkmcnt(0)
	s_branch .LBB0_0
	.loc	1 0 0 is_stmt 0                 ; :0:0
.Ltmp0:
	.p2align	8
; %bb.17:
.LBB0_0:
	s_mov_b32 s8, s17
.Ltmp1:
	.loc	1 64 29 is_stmt 1               ; _euclidean_dist_aot.py:64:29
	v_readfirstlane_b32 s9, v0
	.loc	1 46 43                         ; _euclidean_dist_aot.py:46:43
	v_and_b32_e32 v1, 63, v0
	.loc	1 45 31                         ; _euclidean_dist_aot.py:45:31
	s_cmp_lt_i32 s10, 1
	v_mov_b32_e32 v4, 0
	s_cbranch_scc1 .LBB0_7
; %bb.1:                                ; %.lr.ph.preheader
	.loc	1 38 34                         ; _euclidean_dist_aot.py:38:34
	s_mul_i32 s0, s11, s16
	.loc	1 38 26 is_stmt 0               ; _euclidean_dist_aot.py:38:26
	s_ashr_i32 s1, s0, 31
	s_lshl_b64 s[0:1], s[0:1], 2
	s_add_u32 s0, s2, s0
	.loc	1 39 34 is_stmt 1               ; _euclidean_dist_aot.py:39:34
	s_mul_i32 s2, s12, s8
	.loc	1 38 26                         ; _euclidean_dist_aot.py:38:26
	s_addc_u32 s1, s3, s1
	.loc	1 39 26                         ; _euclidean_dist_aot.py:39:26
	s_ashr_i32 s3, s2, 31
	s_lshl_b64 s[2:3], s[2:3], 2
	s_add_u32 s2, s4, s2
	v_mov_b32_e32 v6, 0
	s_addc_u32 s3, s5, s3
	.loc	1 50 26                         ; _euclidean_dist_aot.py:50:26
	v_and_or_b32 v5, s9, 64, v1
	s_mov_b32 s11, 0
	v_mov_b32_e32 v4, v6
	s_branch .LBB0_3
.LBB0_2:                                ;   in Loop: Header=BB0_3 Depth=1
	.loc	1 0 26 is_stmt 0                ; _euclidean_dist_aot.py:0:26
	s_or_b64 exec, exec, s[4:5]
	.loc	1 55 22 is_stmt 1               ; _euclidean_dist_aot.py:55:22
	s_waitcnt vmcnt(0)
	v_sub_f32_e32 v2, v7, v3
	.loc	1 45 31                         ; _euclidean_dist_aot.py:45:31
	s_addk_i32 s11, 0x80
	s_cmp_lt_i32 s11, s10
	.loc	1 55 15                         ; _euclidean_dist_aot.py:55:15
	v_fmac_f32_e32 v4, v2, v2
	.loc	1 45 31                         ; _euclidean_dist_aot.py:45:31
	s_cbranch_scc0 .LBB0_7
.LBB0_3:                                ; %.lr.ph
                                        ; =>This Inner Loop Header: Depth=1
	.loc	1 47 29                         ; _euclidean_dist_aot.py:47:29
	v_add_u32_e32 v2, s11, v5
	v_cmp_gt_i32_e32 vcc, s10, v2
	v_mov_b32_e32 v7, v6
	.loc	1 50 26                         ; _euclidean_dist_aot.py:50:26
	s_and_saveexec_b64 s[4:5], vcc
	s_cbranch_execz .LBB0_5
; %bb.4:                                ;   in Loop: Header=BB0_3 Depth=1
	.loc	1 0 26 is_stmt 0                ; _euclidean_dist_aot.py:0:26
	v_ashrrev_i32_e32 v3, 31, v2
	v_lshl_add_u64 v[8:9], v[2:3], 2, s[0:1]
	.loc	1 50 26                         ; _euclidean_dist_aot.py:50:26
	global_load_dword v7, v[8:9], off
.LBB0_5:                                ;   in Loop: Header=BB0_3 Depth=1
	.loc	1 0 26                          ; _euclidean_dist_aot.py:0:26
	s_or_b64 exec, exec, s[4:5]
	.loc	1 51 26 is_stmt 1               ; _euclidean_dist_aot.py:51:26
	v_mov_b32_e32 v3, 0
	s_and_saveexec_b64 s[4:5], vcc
	s_cbranch_execz .LBB0_2
; %bb.6:                                ;   in Loop: Header=BB0_3 Depth=1
	.loc	1 0 26 is_stmt 0                ; _euclidean_dist_aot.py:0:26
	v_ashrrev_i32_e32 v3, 31, v2
	v_lshl_add_u64 v[2:3], v[2:3], 2, s[2:3]
	.loc	1 51 26                         ; _euclidean_dist_aot.py:51:26
	global_load_dword v3, v[2:3], off
	s_branch .LBB0_2
.LBB0_7:                                ; %._crit_edge
.Ltmp2:
	.file	2 "/root/.local/lib/python3.13/site-packages/triton/language" "standard.py"
	.loc	2 263 15 is_stmt 1              ; standard.py:263:15 @[ standard.py:293:36 @[ _euclidean_dist_aot.py:58:21 ] ]
	s_nop 0
	v_add_f32_dpp v2, v4, v4 row_shr:8 row_mask:0xf bank_mask:0xf bound_ctrl:1
.Ltmp3:
	.loc	2 293 36                        ; standard.py:293:36 @[ _euclidean_dist_aot.py:58:21 ]
	s_and_b32 s0, s9, 0x80
.Ltmp4:
	.loc	2 263 15                        ; standard.py:263:15 @[ standard.py:293:36 @[ _euclidean_dist_aot.py:58:21 ] ]
	s_nop 0
	v_add_f32_dpp v2, v2, v2 row_shr:4 row_mask:0xf bank_mask:0xf bound_ctrl:1
	s_nop 1
	v_add_f32_dpp v2, v2, v2 row_shr:2 row_mask:0xf bank_mask:0xf bound_ctrl:1
	;; [unrolled: 2-line block ×3, first 2 shown]
.Ltmp5:
	.loc	2 293 36                        ; standard.py:293:36 @[ _euclidean_dist_aot.py:58:21 ]
	v_mov_b32_e32 v3, v2
	s_nop 1
	v_mov_b32_dpp v3, v3 row_bcast:15 row_mask:0xa bank_mask:0xf bound_ctrl:1
.Ltmp6:
	.loc	2 263 15                        ; standard.py:263:15 @[ standard.py:293:36 @[ _euclidean_dist_aot.py:58:21 ] ]
	v_add_f32_e32 v2, v2, v3
	s_nop 1
	v_add_f32_dpp v2, v2, v2 row_bcast:31 row_mask:0xf bank_mask:0xf bound_ctrl:1
.Ltmp7:
	.loc	2 293 36                        ; standard.py:293:36 @[ _euclidean_dist_aot.py:58:21 ]
	s_nop 0
	v_readlane_b32 s2, v2, 63
	v_or_b32_e32 v2, s0, v1
	v_cmp_eq_u32_e32 vcc, 0, v2
	s_and_saveexec_b64 s[0:1], vcc
	s_cbranch_execz .LBB0_9
; %bb.8:
	.loc	2 0 36 is_stmt 0                ; standard.py:0:36
	s_lshr_b32 s3, s9, 4
	s_and_b32 s3, s3, 4
	s_add_i32 s3, s3, 0
	.loc	2 293 36                        ; standard.py:293:36 @[ _euclidean_dist_aot.py:58:21 ]
	v_mov_b32_e32 v2, s3
	v_mov_b32_e32 v3, s2
	ds_write_b32 v2, v3
.LBB0_9:
	.loc	2 0 36                          ; standard.py:0:36
	s_or_b64 exec, exec, s[0:1]
	.loc	2 293 36                        ; standard.py:293:36 @[ _euclidean_dist_aot.py:58:21 ]
	v_cmp_gt_u32_e32 vcc, 2, v0
	v_lshl_add_u32 v2, v0, 2, 0
.Ltmp8:
	.loc	1 58 21 is_stmt 1               ; _euclidean_dist_aot.py:58:21
	v_mov_b32_e32 v3, 0
.Ltmp9:
	.loc	2 293 36                        ; standard.py:293:36 @[ _euclidean_dist_aot.py:58:21 ]
	s_waitcnt lgkmcnt(0)
	s_barrier
	s_and_saveexec_b64 s[0:1], vcc
; %bb.10:
	ds_read_b32 v3, v2
; %bb.11:
	.loc	2 0 36 is_stmt 0                ; standard.py:0:36
	s_or_b64 exec, exec, s[0:1]
	.loc	2 293 36                        ; standard.py:293:36 @[ _euclidean_dist_aot.py:58:21 ]
	v_and_b32_e32 v0, 1, v0
	s_waitcnt lgkmcnt(0)
	v_mov_b32_e32 v4, v3
	v_cmp_eq_u32_e64 s[0:1], 0, v0
	s_and_b64 s[2:3], vcc, s[0:1]
	v_mov_b32_dpp v4, v4 quad_perm:[1,0,3,2] row_mask:0xf bank_mask:0xf
	s_and_saveexec_b64 s[0:1], s[2:3]
; %bb.12:
	.loc	2 0 36                          ; standard.py:0:36
	v_add_f32_e32 v0, v3, v4
	.loc	2 293 36                        ; standard.py:293:36 @[ _euclidean_dist_aot.py:58:21 ]
	ds_write_b32 v2, v0
.Ltmp10:
; %bb.13:
	.loc	2 0 36                          ; standard.py:0:36
	s_or_b64 exec, exec, s[0:1]
	.loc	1 64 29 is_stmt 1               ; _euclidean_dist_aot.py:64:29
	s_lshr_b32 s0, s9, 6
	v_or_b32_e32 v0, s0, v1
	v_cmp_eq_u32_e32 vcc, 0, v0
.Ltmp11:
	.loc	2 293 36                        ; standard.py:293:36 @[ _euclidean_dist_aot.py:58:21 ]
	s_waitcnt lgkmcnt(0)
	s_barrier
.Ltmp12:
	.loc	1 64 29                         ; _euclidean_dist_aot.py:64:29
	s_and_saveexec_b64 s[0:1], vcc
	s_cbranch_execz .LBB0_15
; %bb.14:
	.loc	1 40 55                         ; _euclidean_dist_aot.py:40:55
	v_mov_b32_e32 v0, 0
.Ltmp13:
	.loc	2 293 36                        ; standard.py:293:36 @[ _euclidean_dist_aot.py:58:21 ]
	ds_read_b32 v1, v0
.Ltmp14:
	.loc	1 40 42                         ; _euclidean_dist_aot.py:40:42
	s_mul_i32 s0, s13, s16
	.loc	1 40 34 is_stmt 0               ; _euclidean_dist_aot.py:40:34
	s_ashr_i32 s1, s0, 31
	s_lshl_b64 s[0:1], s[0:1], 2
	s_add_u32 s2, s6, s0
	s_addc_u32 s3, s7, s1
	.loc	1 40 55                         ; _euclidean_dist_aot.py:40:55
	s_ashr_i32 s9, s8, 31
	.loc	1 61 19 is_stmt 1               ; _euclidean_dist_aot.py:61:19
	s_waitcnt lgkmcnt(0)
	v_sqrt_f32_e32 v1, v1
	.loc	1 40 55                         ; _euclidean_dist_aot.py:40:55
	s_lshl_b64 s[0:1], s[8:9], 2
	s_add_u32 s0, s2, s0
	s_addc_u32 s1, s3, s1
	.loc	1 64 29                         ; _euclidean_dist_aot.py:64:29
	global_store_dword v0, v1, s[0:1]
.LBB0_15:
	.loc	1 64 4 is_stmt 0                ; _euclidean_dist_aot.py:64:4
	s_endpgm
.Ltmp15:
	.section	.rodata,"a",@progbits
	.p2align	6, 0x0
	.amdhsa_kernel _euclidean_dist_kernel
		.amdhsa_group_segment_fixed_size 0
		.amdhsa_private_segment_fixed_size 0
		.amdhsa_kernarg_size 64
		.amdhsa_user_sgpr_count 16
		.amdhsa_user_sgpr_dispatch_ptr 0
		.amdhsa_user_sgpr_queue_ptr 0
		.amdhsa_user_sgpr_kernarg_segment_ptr 1
		.amdhsa_user_sgpr_dispatch_id 0
		.amdhsa_user_sgpr_kernarg_preload_length 14
		.amdhsa_user_sgpr_kernarg_preload_offset 0
		.amdhsa_user_sgpr_private_segment_size 0
		.amdhsa_uses_dynamic_stack 0
		.amdhsa_enable_private_segment 0
		.amdhsa_system_sgpr_workgroup_id_x 1
		.amdhsa_system_sgpr_workgroup_id_y 1
		.amdhsa_system_sgpr_workgroup_id_z 0
		.amdhsa_system_sgpr_workgroup_info 0
		.amdhsa_system_vgpr_workitem_id 0
		.amdhsa_next_free_vgpr 10
		.amdhsa_next_free_sgpr 18
		.amdhsa_accum_offset 12
		.amdhsa_reserve_vcc 1
		.amdhsa_reserve_xnack_mask 1
		.amdhsa_float_round_mode_32 0
		.amdhsa_float_round_mode_16_64 0
		.amdhsa_float_denorm_mode_32 3
		.amdhsa_float_denorm_mode_16_64 3
		.amdhsa_dx10_clamp 1
		.amdhsa_ieee_mode 1
		.amdhsa_fp16_overflow 0
		.amdhsa_tg_split 0
		.amdhsa_exception_fp_ieee_invalid_op 0
		.amdhsa_exception_fp_denorm_src 0
		.amdhsa_exception_fp_ieee_div_zero 0
		.amdhsa_exception_fp_ieee_overflow 0
		.amdhsa_exception_fp_ieee_underflow 0
		.amdhsa_exception_fp_ieee_inexact 0
		.amdhsa_exception_int_div_zero 0
	.end_amdhsa_kernel
	.text
.Lfunc_end0:
	.size	_euclidean_dist_kernel, .Lfunc_end0-_euclidean_dist_kernel
	.cfi_endproc
                                        ; -- End function
	.set _euclidean_dist_kernel.num_vgpr, 10
	.set _euclidean_dist_kernel.num_agpr, 0
	.set _euclidean_dist_kernel.numbered_sgpr, 18
	.set _euclidean_dist_kernel.num_named_barrier, 0
	.set _euclidean_dist_kernel.private_seg_size, 0
	.set _euclidean_dist_kernel.uses_vcc, 1
	.set _euclidean_dist_kernel.uses_flat_scratch, 0
	.set _euclidean_dist_kernel.has_dyn_sized_stack, 0
	.set _euclidean_dist_kernel.has_recursion, 0
	.set _euclidean_dist_kernel.has_indirect_call, 0
	.section	.AMDGPU.csdata,"",@progbits
; Kernel info:
; codeLenInByte = 788
; TotalNumSgprs: 24
; NumVgprs: 10
; NumAgprs: 0
; TotalNumVgprs: 10
; ScratchSize: 0
; MemoryBound: 0
; FloatMode: 240
; IeeeMode: 1
; LDSByteSize: 0 bytes/workgroup (compile time only)
; SGPRBlocks: 2
; VGPRBlocks: 1
; NumSGPRsForWavesPerEU: 24
; NumVGPRsForWavesPerEU: 10
; AccumOffset: 12
; Occupancy: 8
; WaveLimiterHint : 0
; COMPUTE_PGM_RSRC2:SCRATCH_EN: 0
; COMPUTE_PGM_RSRC2:USER_SGPR: 16
; COMPUTE_PGM_RSRC2:TRAP_HANDLER: 0
; COMPUTE_PGM_RSRC2:TGID_X_EN: 1
; COMPUTE_PGM_RSRC2:TGID_Y_EN: 1
; COMPUTE_PGM_RSRC2:TGID_Z_EN: 0
; COMPUTE_PGM_RSRC2:TIDIG_COMP_CNT: 0
; COMPUTE_PGM_RSRC3_GFX90A:ACCUM_OFFSET: 2
; COMPUTE_PGM_RSRC3_GFX90A:TG_SPLIT: 0
	.text
	.p2alignl 6, 3212836864
	.fill 256, 4, 3212836864
	.section	.AMDGPU.gpr_maximums,"",@progbits
	.set amdgpu.max_num_vgpr, 0
	.set amdgpu.max_num_agpr, 0
	.set amdgpu.max_num_sgpr, 0
	.set amdgpu.max_num_named_barrier, 0
	.text
	.section	.debug_abbrev,"",@progbits
	.byte	1                               ; Abbreviation Code
	.byte	17                              ; DW_TAG_compile_unit
	.byte	1                               ; DW_CHILDREN_yes
	.byte	37                              ; DW_AT_producer
	.byte	14                              ; DW_FORM_strp
	.byte	19                              ; DW_AT_language
	.byte	5                               ; DW_FORM_data2
	.byte	3                               ; DW_AT_name
	.byte	14                              ; DW_FORM_strp
	.byte	16                              ; DW_AT_stmt_list
	.byte	23                              ; DW_FORM_sec_offset
	.byte	27                              ; DW_AT_comp_dir
	.byte	14                              ; DW_FORM_strp
	.byte	17                              ; DW_AT_low_pc
	.byte	1                               ; DW_FORM_addr
	.byte	18                              ; DW_AT_high_pc
	.byte	6                               ; DW_FORM_data4
	.byte	0                               ; EOM(1)
	.byte	0                               ; EOM(2)
	.byte	2                               ; Abbreviation Code
	.byte	46                              ; DW_TAG_subprogram
	.byte	0                               ; DW_CHILDREN_no
	.byte	3                               ; DW_AT_name
	.byte	14                              ; DW_FORM_strp
	.byte	32                              ; DW_AT_inline
	.byte	11                              ; DW_FORM_data1
	.byte	0                               ; EOM(1)
	.byte	0                               ; EOM(2)
	.byte	3                               ; Abbreviation Code
	.byte	46                              ; DW_TAG_subprogram
	.byte	1                               ; DW_CHILDREN_yes
	.byte	17                              ; DW_AT_low_pc
	.byte	1                               ; DW_FORM_addr
	.byte	18                              ; DW_AT_high_pc
	.byte	6                               ; DW_FORM_data4
	.byte	49                              ; DW_AT_abstract_origin
	.byte	19                              ; DW_FORM_ref4
	.byte	0                               ; EOM(1)
	.byte	0                               ; EOM(2)
	.byte	4                               ; Abbreviation Code
	.byte	29                              ; DW_TAG_inlined_subroutine
	.byte	1                               ; DW_CHILDREN_yes
	.byte	49                              ; DW_AT_abstract_origin
	.byte	19                              ; DW_FORM_ref4
	.byte	85                              ; DW_AT_ranges
	.byte	23                              ; DW_FORM_sec_offset
	.byte	88                              ; DW_AT_call_file
	.byte	11                              ; DW_FORM_data1
	.byte	89                              ; DW_AT_call_line
	.byte	11                              ; DW_FORM_data1
	.byte	87                              ; DW_AT_call_column
	.byte	11                              ; DW_FORM_data1
	.byte	0                               ; EOM(1)
	.byte	0                               ; EOM(2)
	.byte	5                               ; Abbreviation Code
	.byte	29                              ; DW_TAG_inlined_subroutine
	.byte	0                               ; DW_CHILDREN_no
	.byte	49                              ; DW_AT_abstract_origin
	.byte	19                              ; DW_FORM_ref4
	.byte	85                              ; DW_AT_ranges
	.byte	23                              ; DW_FORM_sec_offset
	.byte	88                              ; DW_AT_call_file
	.byte	11                              ; DW_FORM_data1
	.byte	89                              ; DW_AT_call_line
	.byte	5                               ; DW_FORM_data2
	.byte	87                              ; DW_AT_call_column
	.byte	11                              ; DW_FORM_data1
	.byte	0                               ; EOM(1)
	.byte	0                               ; EOM(2)
	;; [unrolled: 1-line block ×3, first 2 shown]
	.section	.debug_info,"",@progbits
.Lcu_begin0:
	.long	.Ldebug_info_end0-.Ldebug_info_start0 ; Length of Unit
.Ldebug_info_start0:
	.short	4                               ; DWARF version number
	.long	.debug_abbrev                   ; Offset Into Abbrev. Section
	.byte	8                               ; Address Size (in bytes)
	.byte	1                               ; Abbrev [1] 0xb:0x52 DW_TAG_compile_unit
	.long	.Linfo_string0                  ; DW_AT_producer
	.short	2                               ; DW_AT_language
	.long	.Linfo_string1                  ; DW_AT_name
	.long	.Lline_table_start0             ; DW_AT_stmt_list
	.long	.Linfo_string2                  ; DW_AT_comp_dir
	.quad	.Lfunc_begin0                   ; DW_AT_low_pc
	.long	.Lfunc_end0-.Lfunc_begin0       ; DW_AT_high_pc
	.byte	2                               ; Abbrev [2] 0x2a:0x6 DW_TAG_subprogram
	.long	.Linfo_string3                  ; DW_AT_name
	.byte	1                               ; DW_AT_inline
	.byte	3                               ; Abbrev [3] 0x30:0x2c DW_TAG_subprogram
	.quad	.Lfunc_begin0                   ; DW_AT_low_pc
	.long	.Lfunc_end0-.Lfunc_begin0       ; DW_AT_high_pc
	.long	42                              ; DW_AT_abstract_origin
	.byte	4                               ; Abbrev [4] 0x41:0x1a DW_TAG_inlined_subroutine
	.long	42                              ; DW_AT_abstract_origin
	.long	.Ldebug_ranges0                 ; DW_AT_ranges
	.byte	1                               ; DW_AT_call_file
	.byte	58                              ; DW_AT_call_line
	.byte	21                              ; DW_AT_call_column
	.byte	5                               ; Abbrev [5] 0x4d:0xd DW_TAG_inlined_subroutine
	.long	42                              ; DW_AT_abstract_origin
	.long	.Ldebug_ranges1                 ; DW_AT_ranges
	.byte	2                               ; DW_AT_call_file
	.short	293                             ; DW_AT_call_line
	.byte	36                              ; DW_AT_call_column
	.byte	0                               ; End Of Children Mark
	.byte	0                               ; End Of Children Mark
	;; [unrolled: 1-line block ×3, first 2 shown]
.Ldebug_info_end0:
	.section	.debug_ranges,"",@progbits
.Ldebug_ranges0:
	.quad	.Ltmp2-.Lfunc_begin0
	.quad	.Ltmp8-.Lfunc_begin0
	;; [unrolled: 1-line block ×8, first 2 shown]
	.quad	0
	.quad	0
.Ldebug_ranges1:
	.quad	.Ltmp2-.Lfunc_begin0
	.quad	.Ltmp3-.Lfunc_begin0
	.quad	.Ltmp4-.Lfunc_begin0
	.quad	.Ltmp5-.Lfunc_begin0
	.quad	.Ltmp6-.Lfunc_begin0
	.quad	.Ltmp7-.Lfunc_begin0
	.quad	0
	.quad	0
	.section	.debug_str,"MS",@progbits,1
.Linfo_string0:
	.asciz	"triton"                        ; string offset=0
.Linfo_string1:
	.asciz	"_euclidean_dist_aot.py"        ; string offset=7
.Linfo_string2:
	.asciz	"/root/src/amdgpu-assembly/repos/FlagOpen__FlagGems/triton_aot_kernels" ; string offset=30
.Linfo_string3:
	.asciz	"_euclidean_dist_kernel"        ; string offset=100
	.section	".note.GNU-stack","",@progbits
	.amdgpu_metadata
---
amdhsa.kernels:
  - .agpr_count:     0
    .args:
      - .address_space:  global
        .offset:         0
        .size:           8
        .value_kind:     global_buffer
      - .address_space:  global
        .offset:         8
        .size:           8
        .value_kind:     global_buffer
      - .address_space:  global
        .offset:         16
        .size:           8
        .value_kind:     global_buffer
      - .offset:         24
        .size:           4
        .value_kind:     by_value
      - .offset:         28
        .size:           4
        .value_kind:     by_value
      - .offset:         32
        .size:           4
        .value_kind:     by_value
      - .offset:         36
        .size:           4
        .value_kind:     by_value
      - .offset:         40
        .size:           4
        .value_kind:     by_value
      - .offset:         44
        .size:           4
        .value_kind:     by_value
      - .address_space:  global
        .offset:         48
        .size:           8
        .value_kind:     global_buffer
      - .address_space:  global
        .offset:         56
        .size:           8
        .value_kind:     global_buffer
    .group_segment_fixed_size: 0
    .kernarg_segment_align: 8
    .kernarg_segment_size: 64
    .max_flat_workgroup_size: 256
    .name:           _euclidean_dist_kernel
    .private_segment_fixed_size: 0
    .sgpr_count:     24
    .sgpr_spill_count: 0
    .symbol:         _euclidean_dist_kernel.kd
    .uniform_work_group_size: 1
    .uses_dynamic_stack: false
    .vgpr_count:     10
    .vgpr_spill_count: 0
    .wavefront_size: 64
amdhsa.target:   amdgcn-amd-amdhsa--gfx950
amdhsa.version:
  - 1
  - 2
...

	.end_amdgpu_metadata
	.section	.debug_line,"",@progbits
.Lline_table_start0:
